;; amdgpu-corpus repo=ROCm/MIOpen kind=compiled arch=gfx906 opt=O3
	.amdgcn_target "amdgcn-amd-amdhsa--gfx906"
	.amdhsa_code_object_version 6
	.text
	.protected	Cat8FwdPacked           ; -- Begin function Cat8FwdPacked
	.globl	Cat8FwdPacked
	.p2align	8
	.type	Cat8FwdPacked,@function
Cat8FwdPacked:                          ; @Cat8FwdPacked
; %bb.0:
	s_load_dword s8, s[4:5], 0xac
	s_load_dwordx4 s[0:3], s[4:5], 0x88
	s_add_u32 s34, s4, 0xa0
	s_addc_u32 s35, s5, 0
	v_mov_b32_e32 v4, 0
	s_waitcnt lgkmcnt(0)
	s_lshr_b32 s8, s8, 16
	s_mul_i32 s7, s7, s8
	v_add_u32_e32 v3, s7, v1
	v_cmp_gt_u64_e32 vcc, s[0:1], v[3:4]
	s_and_saveexec_b64 s[0:1], vcc
	s_cbranch_execz .LBB0_80
; %bb.1:
	s_load_dwordx2 s[0:1], s[4:5], 0x98
	s_load_dwordx2 s[44:45], s[4:5], 0x40
	s_load_dwordx8 s[36:43], s[4:5], 0x0
	s_load_dwordx8 s[24:31], s[4:5], 0x20
	s_load_dwordx16 s[8:23], s[4:5], 0x48
	s_waitcnt lgkmcnt(0)
	s_mul_i32 s7, s0, s3
	v_mov_b32_e32 v1, s44
	s_mul_hi_u32 s33, s0, s2
	s_mul_i32 s0, s0, s2
	v_mov_b32_e32 v2, s45
	v_mad_u64_u32 v[1:2], s[4:5], s0, v3, v[1:2]
	s_add_i32 s0, s33, s7
	s_mul_i32 s1, s1, s2
	s_add_i32 s0, s0, s1
	v_mad_u64_u32 v[4:5], s[0:1], s0, v3, v[2:3]
	s_cmp_eq_u64 s[36:37], 0
	v_mov_b32_e32 v10, v4
	s_cbranch_scc1 .LBB0_11
; %bb.2:
	s_load_dword s7, s[34:35], 0x0
	v_mov_b32_e32 v10, 0
	v_mov_b32_e32 v5, s36
	v_mov_b32_e32 v6, s37
	s_waitcnt lgkmcnt(0)
	s_cmp_lt_u32 s6, s7
	s_cselect_b32 s0, 12, 18
	s_add_u32 s0, s34, s0
	s_addc_u32 s1, s35, 0
	global_load_ushort v2, v10, s[0:1]
	s_mul_i32 s0, s2, s8
	v_mad_u64_u32 v[5:6], s[4:5], s0, v3, v[5:6]
	s_mul_i32 s1, s2, s9
	s_mul_hi_u32 s4, s2, s8
	s_mul_i32 s5, s3, s8
	s_add_i32 s1, s4, s1
	s_add_i32 s1, s1, s5
	s_waitcnt vmcnt(0)
	v_mul_lo_u32 v7, s6, v2
	v_mad_u64_u32 v[8:9], s[4:5], s1, v3, v[6:7]
	v_add_u32_e32 v9, v7, v0
	v_lshlrev_b64 v[6:7], 3, v[9:10]
	v_add_co_u32_e32 v11, vcc, 8, v6
	v_addc_co_u32_e32 v12, vcc, 0, v7, vcc
	v_cmp_ge_u64_e32 vcc, s[0:1], v[11:12]
	s_and_saveexec_b64 s[4:5], vcc
	s_cbranch_execz .LBB0_6
; %bb.3:
	v_mul_lo_u32 v9, s7, v2
	s_mov_b64 s[8:9], 0
	v_lshlrev_b64 v[9:10], 3, v[9:10]
.LBB0_4:                                ; =>This Inner Loop Header: Depth=1
	v_add_co_u32_e32 v11, vcc, v5, v6
	v_addc_co_u32_e32 v12, vcc, v8, v7, vcc
	global_load_dwordx2 v[11:12], v[11:12], off
	v_add_co_u32_e32 v13, vcc, v1, v6
	v_addc_co_u32_e32 v14, vcc, v4, v7, vcc
	v_add_co_u32_e32 v6, vcc, v6, v9
	v_addc_co_u32_e32 v7, vcc, v7, v10, vcc
	;; [unrolled: 2-line block ×3, first 2 shown]
	v_cmp_lt_u64_e32 vcc, s[0:1], v[15:16]
	s_or_b64 s[8:9], vcc, s[8:9]
	s_waitcnt vmcnt(0)
	global_store_dwordx2 v[13:14], v[11:12], off
	s_andn2_b64 exec, exec, s[8:9]
	s_cbranch_execnz .LBB0_4
; %bb.5:
	s_or_b64 exec, exec, s[8:9]
.LBB0_6:
	s_or_b64 exec, exec, s[4:5]
	v_or_b32_e32 v9, 4, v6
	v_mov_b32_e32 v10, v7
	v_cmp_ge_u64_e32 vcc, s[0:1], v[9:10]
	s_and_saveexec_b64 s[4:5], vcc
	s_cbranch_execz .LBB0_8
; %bb.7:
	v_add_co_u32_e32 v11, vcc, v5, v6
	v_addc_co_u32_e32 v12, vcc, v8, v7, vcc
	global_load_dword v2, v[11:12], off
	v_add_co_u32_e32 v6, vcc, v1, v6
	v_addc_co_u32_e32 v7, vcc, v4, v7, vcc
	s_waitcnt vmcnt(0)
	global_store_dword v[6:7], v2, off
	v_mov_b32_e32 v6, v9
	v_mov_b32_e32 v7, v10
.LBB0_8:
	s_or_b64 exec, exec, s[4:5]
	v_cmp_gt_u64_e32 vcc, s[0:1], v[6:7]
	s_and_saveexec_b64 s[4:5], vcc
	s_cbranch_execz .LBB0_10
; %bb.9:
	v_add_co_u32_e32 v9, vcc, v5, v6
	v_addc_co_u32_e32 v10, vcc, v8, v7, vcc
	global_load_ushort v2, v[9:10], off
	v_add_co_u32_e32 v5, vcc, v1, v6
	v_addc_co_u32_e32 v6, vcc, v4, v7, vcc
	s_waitcnt vmcnt(0)
	global_store_short v[5:6], v2, off
.LBB0_10:
	s_or_b64 exec, exec, s[4:5]
	v_mov_b32_e32 v2, s1
	v_add_co_u32_e32 v1, vcc, s0, v1
	v_addc_co_u32_e32 v10, vcc, v4, v2, vcc
.LBB0_11:
	s_cmp_eq_u64 s[38:39], 0
	s_cbranch_scc1 .LBB0_21
; %bb.12:
	s_load_dword s7, s[34:35], 0x0
	v_mov_b32_e32 v9, 0
	v_mov_b32_e32 v4, s38
	;; [unrolled: 1-line block ×3, first 2 shown]
	s_waitcnt lgkmcnt(0)
	s_cmp_lt_u32 s6, s7
	s_cselect_b32 s0, 12, 18
	s_add_u32 s0, s34, s0
	s_addc_u32 s1, s35, 0
	global_load_ushort v2, v9, s[0:1]
	s_mul_i32 s0, s2, s10
	v_mad_u64_u32 v[4:5], s[4:5], s0, v3, v[4:5]
	s_mul_i32 s1, s2, s11
	s_mul_hi_u32 s4, s2, s10
	s_mul_i32 s5, s3, s10
	s_add_i32 s1, s4, s1
	s_add_i32 s1, s1, s5
	s_waitcnt vmcnt(0)
	v_mul_lo_u32 v6, s6, v2
	v_mad_u64_u32 v[7:8], s[4:5], s1, v3, v[5:6]
	v_add_u32_e32 v8, v6, v0
	v_lshlrev_b64 v[5:6], 3, v[8:9]
	v_add_co_u32_e32 v11, vcc, 8, v5
	v_addc_co_u32_e32 v12, vcc, 0, v6, vcc
	v_cmp_ge_u64_e32 vcc, s[0:1], v[11:12]
	s_and_saveexec_b64 s[4:5], vcc
	s_cbranch_execz .LBB0_16
; %bb.13:
	v_mul_lo_u32 v8, s7, v2
	s_mov_b64 s[8:9], 0
	v_lshlrev_b64 v[8:9], 3, v[8:9]
.LBB0_14:                               ; =>This Inner Loop Header: Depth=1
	v_add_co_u32_e32 v11, vcc, v4, v5
	v_addc_co_u32_e32 v12, vcc, v7, v6, vcc
	global_load_dwordx2 v[11:12], v[11:12], off
	v_add_co_u32_e32 v13, vcc, v1, v5
	v_addc_co_u32_e32 v14, vcc, v10, v6, vcc
	v_add_co_u32_e32 v5, vcc, v5, v8
	v_addc_co_u32_e32 v6, vcc, v6, v9, vcc
	;; [unrolled: 2-line block ×3, first 2 shown]
	v_cmp_lt_u64_e32 vcc, s[0:1], v[15:16]
	s_or_b64 s[8:9], vcc, s[8:9]
	s_waitcnt vmcnt(0)
	global_store_dwordx2 v[13:14], v[11:12], off
	s_andn2_b64 exec, exec, s[8:9]
	s_cbranch_execnz .LBB0_14
; %bb.15:
	s_or_b64 exec, exec, s[8:9]
.LBB0_16:
	s_or_b64 exec, exec, s[4:5]
	v_or_b32_e32 v8, 4, v5
	v_mov_b32_e32 v9, v6
	v_cmp_ge_u64_e32 vcc, s[0:1], v[8:9]
	s_and_saveexec_b64 s[4:5], vcc
	s_cbranch_execz .LBB0_18
; %bb.17:
	v_add_co_u32_e32 v11, vcc, v4, v5
	v_addc_co_u32_e32 v12, vcc, v7, v6, vcc
	global_load_dword v2, v[11:12], off
	v_add_co_u32_e32 v5, vcc, v1, v5
	v_addc_co_u32_e32 v6, vcc, v10, v6, vcc
	s_waitcnt vmcnt(0)
	global_store_dword v[5:6], v2, off
	v_mov_b32_e32 v5, v8
	v_mov_b32_e32 v6, v9
.LBB0_18:
	s_or_b64 exec, exec, s[4:5]
	v_cmp_gt_u64_e32 vcc, s[0:1], v[5:6]
	s_and_saveexec_b64 s[4:5], vcc
	s_cbranch_execz .LBB0_20
; %bb.19:
	v_add_co_u32_e32 v8, vcc, v4, v5
	v_addc_co_u32_e32 v9, vcc, v7, v6, vcc
	global_load_ushort v2, v[8:9], off
	v_add_co_u32_e32 v4, vcc, v1, v5
	v_addc_co_u32_e32 v5, vcc, v10, v6, vcc
	s_waitcnt vmcnt(0)
	global_store_short v[4:5], v2, off
.LBB0_20:
	s_or_b64 exec, exec, s[4:5]
	v_mov_b32_e32 v2, s1
	v_add_co_u32_e32 v1, vcc, s0, v1
	v_addc_co_u32_e32 v10, vcc, v10, v2, vcc
.LBB0_21:
	s_cmp_eq_u64 s[40:41], 0
	s_cbranch_scc1 .LBB0_31
; %bb.22:
	s_load_dword s7, s[34:35], 0x0
	v_mov_b32_e32 v9, 0
	v_mov_b32_e32 v4, s40
	;; [unrolled: 1-line block ×3, first 2 shown]
	s_waitcnt lgkmcnt(0)
	s_cmp_lt_u32 s6, s7
	s_cselect_b32 s0, 12, 18
	s_add_u32 s0, s34, s0
	s_addc_u32 s1, s35, 0
	global_load_ushort v2, v9, s[0:1]
	s_mul_i32 s0, s2, s12
	v_mad_u64_u32 v[4:5], s[4:5], s0, v3, v[4:5]
	s_mul_i32 s1, s2, s13
	s_mul_hi_u32 s4, s2, s12
	s_mul_i32 s5, s3, s12
	s_add_i32 s1, s4, s1
	s_add_i32 s1, s1, s5
	s_waitcnt vmcnt(0)
	v_mul_lo_u32 v6, s6, v2
	v_mad_u64_u32 v[7:8], s[4:5], s1, v3, v[5:6]
	v_add_u32_e32 v8, v6, v0
	v_lshlrev_b64 v[5:6], 3, v[8:9]
	v_add_co_u32_e32 v11, vcc, 8, v5
	v_addc_co_u32_e32 v12, vcc, 0, v6, vcc
	v_cmp_ge_u64_e32 vcc, s[0:1], v[11:12]
	s_and_saveexec_b64 s[4:5], vcc
	s_cbranch_execz .LBB0_26
; %bb.23:
	v_mul_lo_u32 v8, s7, v2
	s_mov_b64 s[8:9], 0
	v_lshlrev_b64 v[8:9], 3, v[8:9]
.LBB0_24:                               ; =>This Inner Loop Header: Depth=1
	v_add_co_u32_e32 v11, vcc, v4, v5
	v_addc_co_u32_e32 v12, vcc, v7, v6, vcc
	global_load_dwordx2 v[11:12], v[11:12], off
	v_add_co_u32_e32 v13, vcc, v1, v5
	v_addc_co_u32_e32 v14, vcc, v10, v6, vcc
	v_add_co_u32_e32 v5, vcc, v5, v8
	v_addc_co_u32_e32 v6, vcc, v6, v9, vcc
	;; [unrolled: 2-line block ×3, first 2 shown]
	v_cmp_lt_u64_e32 vcc, s[0:1], v[15:16]
	s_or_b64 s[8:9], vcc, s[8:9]
	s_waitcnt vmcnt(0)
	global_store_dwordx2 v[13:14], v[11:12], off
	s_andn2_b64 exec, exec, s[8:9]
	s_cbranch_execnz .LBB0_24
; %bb.25:
	s_or_b64 exec, exec, s[8:9]
.LBB0_26:
	s_or_b64 exec, exec, s[4:5]
	v_or_b32_e32 v8, 4, v5
	v_mov_b32_e32 v9, v6
	v_cmp_ge_u64_e32 vcc, s[0:1], v[8:9]
	s_and_saveexec_b64 s[4:5], vcc
	s_cbranch_execz .LBB0_28
; %bb.27:
	v_add_co_u32_e32 v11, vcc, v4, v5
	v_addc_co_u32_e32 v12, vcc, v7, v6, vcc
	global_load_dword v2, v[11:12], off
	v_add_co_u32_e32 v5, vcc, v1, v5
	v_addc_co_u32_e32 v6, vcc, v10, v6, vcc
	s_waitcnt vmcnt(0)
	global_store_dword v[5:6], v2, off
	v_mov_b32_e32 v5, v8
	v_mov_b32_e32 v6, v9
.LBB0_28:
	s_or_b64 exec, exec, s[4:5]
	v_cmp_gt_u64_e32 vcc, s[0:1], v[5:6]
	s_and_saveexec_b64 s[4:5], vcc
	s_cbranch_execz .LBB0_30
; %bb.29:
	v_add_co_u32_e32 v8, vcc, v4, v5
	v_addc_co_u32_e32 v9, vcc, v7, v6, vcc
	global_load_ushort v2, v[8:9], off
	v_add_co_u32_e32 v4, vcc, v1, v5
	v_addc_co_u32_e32 v5, vcc, v10, v6, vcc
	s_waitcnt vmcnt(0)
	global_store_short v[4:5], v2, off
.LBB0_30:
	s_or_b64 exec, exec, s[4:5]
	v_mov_b32_e32 v2, s1
	v_add_co_u32_e32 v1, vcc, s0, v1
	v_addc_co_u32_e32 v10, vcc, v10, v2, vcc
.LBB0_31:
	s_cmp_eq_u64 s[42:43], 0
	s_cbranch_scc1 .LBB0_41
; %bb.32:
	s_load_dword s7, s[34:35], 0x0
	v_mov_b32_e32 v9, 0
	v_mov_b32_e32 v4, s42
	;; [unrolled: 1-line block ×3, first 2 shown]
	s_waitcnt lgkmcnt(0)
	s_cmp_lt_u32 s6, s7
	s_cselect_b32 s0, 12, 18
	s_add_u32 s0, s34, s0
	s_addc_u32 s1, s35, 0
	global_load_ushort v2, v9, s[0:1]
	s_mul_i32 s0, s2, s14
	v_mad_u64_u32 v[4:5], s[4:5], s0, v3, v[4:5]
	s_mul_i32 s1, s2, s15
	s_mul_hi_u32 s4, s2, s14
	s_mul_i32 s5, s3, s14
	s_add_i32 s1, s4, s1
	s_add_i32 s1, s1, s5
	s_waitcnt vmcnt(0)
	v_mul_lo_u32 v6, s6, v2
	v_mad_u64_u32 v[7:8], s[4:5], s1, v3, v[5:6]
	v_add_u32_e32 v8, v6, v0
	v_lshlrev_b64 v[5:6], 3, v[8:9]
	v_add_co_u32_e32 v11, vcc, 8, v5
	v_addc_co_u32_e32 v12, vcc, 0, v6, vcc
	v_cmp_ge_u64_e32 vcc, s[0:1], v[11:12]
	s_and_saveexec_b64 s[4:5], vcc
	s_cbranch_execz .LBB0_36
; %bb.33:
	v_mul_lo_u32 v8, s7, v2
	s_mov_b64 s[8:9], 0
	v_lshlrev_b64 v[8:9], 3, v[8:9]
.LBB0_34:                               ; =>This Inner Loop Header: Depth=1
	v_add_co_u32_e32 v11, vcc, v4, v5
	v_addc_co_u32_e32 v12, vcc, v7, v6, vcc
	global_load_dwordx2 v[11:12], v[11:12], off
	v_add_co_u32_e32 v13, vcc, v1, v5
	v_addc_co_u32_e32 v14, vcc, v10, v6, vcc
	v_add_co_u32_e32 v5, vcc, v5, v8
	v_addc_co_u32_e32 v6, vcc, v6, v9, vcc
	;; [unrolled: 2-line block ×3, first 2 shown]
	v_cmp_lt_u64_e32 vcc, s[0:1], v[15:16]
	s_or_b64 s[8:9], vcc, s[8:9]
	s_waitcnt vmcnt(0)
	global_store_dwordx2 v[13:14], v[11:12], off
	s_andn2_b64 exec, exec, s[8:9]
	s_cbranch_execnz .LBB0_34
; %bb.35:
	s_or_b64 exec, exec, s[8:9]
.LBB0_36:
	s_or_b64 exec, exec, s[4:5]
	v_or_b32_e32 v8, 4, v5
	v_mov_b32_e32 v9, v6
	v_cmp_ge_u64_e32 vcc, s[0:1], v[8:9]
	s_and_saveexec_b64 s[4:5], vcc
	s_cbranch_execz .LBB0_38
; %bb.37:
	v_add_co_u32_e32 v11, vcc, v4, v5
	v_addc_co_u32_e32 v12, vcc, v7, v6, vcc
	global_load_dword v2, v[11:12], off
	v_add_co_u32_e32 v5, vcc, v1, v5
	v_addc_co_u32_e32 v6, vcc, v10, v6, vcc
	s_waitcnt vmcnt(0)
	global_store_dword v[5:6], v2, off
	v_mov_b32_e32 v5, v8
	v_mov_b32_e32 v6, v9
.LBB0_38:
	s_or_b64 exec, exec, s[4:5]
	v_cmp_gt_u64_e32 vcc, s[0:1], v[5:6]
	s_and_saveexec_b64 s[4:5], vcc
	s_cbranch_execz .LBB0_40
; %bb.39:
	v_add_co_u32_e32 v8, vcc, v4, v5
	v_addc_co_u32_e32 v9, vcc, v7, v6, vcc
	global_load_ushort v2, v[8:9], off
	v_add_co_u32_e32 v4, vcc, v1, v5
	v_addc_co_u32_e32 v5, vcc, v10, v6, vcc
	s_waitcnt vmcnt(0)
	global_store_short v[4:5], v2, off
.LBB0_40:
	s_or_b64 exec, exec, s[4:5]
	v_mov_b32_e32 v2, s1
	v_add_co_u32_e32 v1, vcc, s0, v1
	v_addc_co_u32_e32 v10, vcc, v10, v2, vcc
.LBB0_41:
	s_cmp_eq_u64 s[24:25], 0
	s_cbranch_scc1 .LBB0_51
; %bb.42:
	s_load_dword s7, s[34:35], 0x0
	v_mov_b32_e32 v9, 0
	v_mov_b32_e32 v4, s24
	;; [unrolled: 1-line block ×3, first 2 shown]
	s_waitcnt lgkmcnt(0)
	s_cmp_lt_u32 s6, s7
	s_cselect_b32 s0, 12, 18
	s_add_u32 s0, s34, s0
	s_addc_u32 s1, s35, 0
	global_load_ushort v2, v9, s[0:1]
	s_mul_i32 s0, s2, s16
	v_mad_u64_u32 v[4:5], s[4:5], s0, v3, v[4:5]
	s_mul_i32 s1, s2, s17
	s_mul_hi_u32 s4, s2, s16
	s_mul_i32 s5, s3, s16
	s_add_i32 s1, s4, s1
	s_add_i32 s1, s1, s5
	s_waitcnt vmcnt(0)
	v_mul_lo_u32 v6, s6, v2
	v_mad_u64_u32 v[7:8], s[4:5], s1, v3, v[5:6]
	v_add_u32_e32 v8, v6, v0
	v_lshlrev_b64 v[5:6], 3, v[8:9]
	v_add_co_u32_e32 v11, vcc, 8, v5
	v_addc_co_u32_e32 v12, vcc, 0, v6, vcc
	v_cmp_ge_u64_e32 vcc, s[0:1], v[11:12]
	s_and_saveexec_b64 s[4:5], vcc
	s_cbranch_execz .LBB0_46
; %bb.43:
	v_mul_lo_u32 v8, s7, v2
	s_mov_b64 s[8:9], 0
	v_lshlrev_b64 v[8:9], 3, v[8:9]
.LBB0_44:                               ; =>This Inner Loop Header: Depth=1
	v_add_co_u32_e32 v11, vcc, v4, v5
	v_addc_co_u32_e32 v12, vcc, v7, v6, vcc
	global_load_dwordx2 v[11:12], v[11:12], off
	v_add_co_u32_e32 v13, vcc, v1, v5
	v_addc_co_u32_e32 v14, vcc, v10, v6, vcc
	v_add_co_u32_e32 v5, vcc, v5, v8
	v_addc_co_u32_e32 v6, vcc, v6, v9, vcc
	v_add_co_u32_e32 v15, vcc, 8, v5
	v_addc_co_u32_e32 v16, vcc, 0, v6, vcc
	v_cmp_lt_u64_e32 vcc, s[0:1], v[15:16]
	s_or_b64 s[8:9], vcc, s[8:9]
	s_waitcnt vmcnt(0)
	global_store_dwordx2 v[13:14], v[11:12], off
	s_andn2_b64 exec, exec, s[8:9]
	s_cbranch_execnz .LBB0_44
; %bb.45:
	s_or_b64 exec, exec, s[8:9]
.LBB0_46:
	s_or_b64 exec, exec, s[4:5]
	v_or_b32_e32 v8, 4, v5
	v_mov_b32_e32 v9, v6
	v_cmp_ge_u64_e32 vcc, s[0:1], v[8:9]
	s_and_saveexec_b64 s[4:5], vcc
	s_cbranch_execz .LBB0_48
; %bb.47:
	v_add_co_u32_e32 v11, vcc, v4, v5
	v_addc_co_u32_e32 v12, vcc, v7, v6, vcc
	global_load_dword v2, v[11:12], off
	v_add_co_u32_e32 v5, vcc, v1, v5
	v_addc_co_u32_e32 v6, vcc, v10, v6, vcc
	s_waitcnt vmcnt(0)
	global_store_dword v[5:6], v2, off
	v_mov_b32_e32 v5, v8
	v_mov_b32_e32 v6, v9
.LBB0_48:
	s_or_b64 exec, exec, s[4:5]
	v_cmp_gt_u64_e32 vcc, s[0:1], v[5:6]
	s_and_saveexec_b64 s[4:5], vcc
	s_cbranch_execz .LBB0_50
; %bb.49:
	v_add_co_u32_e32 v8, vcc, v4, v5
	v_addc_co_u32_e32 v9, vcc, v7, v6, vcc
	global_load_ushort v2, v[8:9], off
	v_add_co_u32_e32 v4, vcc, v1, v5
	v_addc_co_u32_e32 v5, vcc, v10, v6, vcc
	s_waitcnt vmcnt(0)
	global_store_short v[4:5], v2, off
.LBB0_50:
	s_or_b64 exec, exec, s[4:5]
	v_mov_b32_e32 v2, s1
	v_add_co_u32_e32 v1, vcc, s0, v1
	v_addc_co_u32_e32 v10, vcc, v10, v2, vcc
.LBB0_51:
	s_cmp_eq_u64 s[26:27], 0
	s_cbranch_scc1 .LBB0_61
; %bb.52:
	s_load_dword s7, s[34:35], 0x0
	v_mov_b32_e32 v9, 0
	v_mov_b32_e32 v4, s26
	;; [unrolled: 1-line block ×3, first 2 shown]
	s_waitcnt lgkmcnt(0)
	s_cmp_lt_u32 s6, s7
	s_cselect_b32 s0, 12, 18
	s_add_u32 s0, s34, s0
	s_addc_u32 s1, s35, 0
	global_load_ushort v2, v9, s[0:1]
	s_mul_i32 s0, s2, s18
	v_mad_u64_u32 v[4:5], s[4:5], s0, v3, v[4:5]
	s_mul_i32 s1, s2, s19
	s_mul_hi_u32 s4, s2, s18
	s_mul_i32 s5, s3, s18
	s_add_i32 s1, s4, s1
	s_add_i32 s1, s1, s5
	s_waitcnt vmcnt(0)
	v_mul_lo_u32 v6, s6, v2
	v_mad_u64_u32 v[7:8], s[4:5], s1, v3, v[5:6]
	v_add_u32_e32 v8, v6, v0
	v_lshlrev_b64 v[5:6], 3, v[8:9]
	v_add_co_u32_e32 v11, vcc, 8, v5
	v_addc_co_u32_e32 v12, vcc, 0, v6, vcc
	v_cmp_ge_u64_e32 vcc, s[0:1], v[11:12]
	s_and_saveexec_b64 s[4:5], vcc
	s_cbranch_execz .LBB0_56
; %bb.53:
	v_mul_lo_u32 v8, s7, v2
	s_mov_b64 s[8:9], 0
	v_lshlrev_b64 v[8:9], 3, v[8:9]
.LBB0_54:                               ; =>This Inner Loop Header: Depth=1
	v_add_co_u32_e32 v11, vcc, v4, v5
	v_addc_co_u32_e32 v12, vcc, v7, v6, vcc
	global_load_dwordx2 v[11:12], v[11:12], off
	v_add_co_u32_e32 v13, vcc, v1, v5
	v_addc_co_u32_e32 v14, vcc, v10, v6, vcc
	v_add_co_u32_e32 v5, vcc, v5, v8
	v_addc_co_u32_e32 v6, vcc, v6, v9, vcc
	;; [unrolled: 2-line block ×3, first 2 shown]
	v_cmp_lt_u64_e32 vcc, s[0:1], v[15:16]
	s_or_b64 s[8:9], vcc, s[8:9]
	s_waitcnt vmcnt(0)
	global_store_dwordx2 v[13:14], v[11:12], off
	s_andn2_b64 exec, exec, s[8:9]
	s_cbranch_execnz .LBB0_54
; %bb.55:
	s_or_b64 exec, exec, s[8:9]
.LBB0_56:
	s_or_b64 exec, exec, s[4:5]
	v_or_b32_e32 v8, 4, v5
	v_mov_b32_e32 v9, v6
	v_cmp_ge_u64_e32 vcc, s[0:1], v[8:9]
	s_and_saveexec_b64 s[4:5], vcc
	s_cbranch_execz .LBB0_58
; %bb.57:
	v_add_co_u32_e32 v11, vcc, v4, v5
	v_addc_co_u32_e32 v12, vcc, v7, v6, vcc
	global_load_dword v2, v[11:12], off
	v_add_co_u32_e32 v5, vcc, v1, v5
	v_addc_co_u32_e32 v6, vcc, v10, v6, vcc
	s_waitcnt vmcnt(0)
	global_store_dword v[5:6], v2, off
	v_mov_b32_e32 v5, v8
	v_mov_b32_e32 v6, v9
.LBB0_58:
	s_or_b64 exec, exec, s[4:5]
	v_cmp_gt_u64_e32 vcc, s[0:1], v[5:6]
	s_and_saveexec_b64 s[4:5], vcc
	s_cbranch_execz .LBB0_60
; %bb.59:
	v_add_co_u32_e32 v8, vcc, v4, v5
	v_addc_co_u32_e32 v9, vcc, v7, v6, vcc
	global_load_ushort v2, v[8:9], off
	v_add_co_u32_e32 v4, vcc, v1, v5
	v_addc_co_u32_e32 v5, vcc, v10, v6, vcc
	s_waitcnt vmcnt(0)
	global_store_short v[4:5], v2, off
.LBB0_60:
	s_or_b64 exec, exec, s[4:5]
	v_mov_b32_e32 v2, s1
	v_add_co_u32_e32 v1, vcc, s0, v1
	v_addc_co_u32_e32 v10, vcc, v10, v2, vcc
.LBB0_61:
	s_cmp_eq_u64 s[28:29], 0
	s_cbranch_scc1 .LBB0_71
; %bb.62:
	s_load_dword s7, s[34:35], 0x0
	v_mov_b32_e32 v9, 0
	v_mov_b32_e32 v4, s28
	;; [unrolled: 1-line block ×3, first 2 shown]
	s_waitcnt lgkmcnt(0)
	s_cmp_lt_u32 s6, s7
	s_cselect_b32 s0, 12, 18
	s_add_u32 s0, s34, s0
	s_addc_u32 s1, s35, 0
	global_load_ushort v2, v9, s[0:1]
	s_mul_i32 s0, s2, s20
	v_mad_u64_u32 v[4:5], s[4:5], s0, v3, v[4:5]
	s_mul_i32 s1, s2, s21
	s_mul_hi_u32 s4, s2, s20
	s_mul_i32 s5, s3, s20
	s_add_i32 s1, s4, s1
	s_add_i32 s1, s1, s5
	s_waitcnt vmcnt(0)
	v_mul_lo_u32 v6, s6, v2
	v_mad_u64_u32 v[7:8], s[4:5], s1, v3, v[5:6]
	v_add_u32_e32 v8, v6, v0
	v_lshlrev_b64 v[5:6], 3, v[8:9]
	v_add_co_u32_e32 v11, vcc, 8, v5
	v_addc_co_u32_e32 v12, vcc, 0, v6, vcc
	v_cmp_ge_u64_e32 vcc, s[0:1], v[11:12]
	s_and_saveexec_b64 s[4:5], vcc
	s_cbranch_execz .LBB0_66
; %bb.63:
	v_mul_lo_u32 v8, s7, v2
	s_mov_b64 s[8:9], 0
	v_lshlrev_b64 v[8:9], 3, v[8:9]
.LBB0_64:                               ; =>This Inner Loop Header: Depth=1
	v_add_co_u32_e32 v11, vcc, v4, v5
	v_addc_co_u32_e32 v12, vcc, v7, v6, vcc
	global_load_dwordx2 v[11:12], v[11:12], off
	v_add_co_u32_e32 v13, vcc, v1, v5
	v_addc_co_u32_e32 v14, vcc, v10, v6, vcc
	v_add_co_u32_e32 v5, vcc, v5, v8
	v_addc_co_u32_e32 v6, vcc, v6, v9, vcc
	;; [unrolled: 2-line block ×3, first 2 shown]
	v_cmp_lt_u64_e32 vcc, s[0:1], v[15:16]
	s_or_b64 s[8:9], vcc, s[8:9]
	s_waitcnt vmcnt(0)
	global_store_dwordx2 v[13:14], v[11:12], off
	s_andn2_b64 exec, exec, s[8:9]
	s_cbranch_execnz .LBB0_64
; %bb.65:
	s_or_b64 exec, exec, s[8:9]
.LBB0_66:
	s_or_b64 exec, exec, s[4:5]
	v_or_b32_e32 v8, 4, v5
	v_mov_b32_e32 v9, v6
	v_cmp_ge_u64_e32 vcc, s[0:1], v[8:9]
	s_and_saveexec_b64 s[4:5], vcc
	s_cbranch_execz .LBB0_68
; %bb.67:
	v_add_co_u32_e32 v11, vcc, v4, v5
	v_addc_co_u32_e32 v12, vcc, v7, v6, vcc
	global_load_dword v2, v[11:12], off
	v_add_co_u32_e32 v5, vcc, v1, v5
	v_addc_co_u32_e32 v6, vcc, v10, v6, vcc
	s_waitcnt vmcnt(0)
	global_store_dword v[5:6], v2, off
	v_mov_b32_e32 v5, v8
	v_mov_b32_e32 v6, v9
.LBB0_68:
	s_or_b64 exec, exec, s[4:5]
	v_cmp_gt_u64_e32 vcc, s[0:1], v[5:6]
	s_and_saveexec_b64 s[4:5], vcc
	s_cbranch_execz .LBB0_70
; %bb.69:
	v_add_co_u32_e32 v8, vcc, v4, v5
	v_addc_co_u32_e32 v9, vcc, v7, v6, vcc
	global_load_ushort v2, v[8:9], off
	v_add_co_u32_e32 v4, vcc, v1, v5
	v_addc_co_u32_e32 v5, vcc, v10, v6, vcc
	s_waitcnt vmcnt(0)
	global_store_short v[4:5], v2, off
.LBB0_70:
	s_or_b64 exec, exec, s[4:5]
	v_mov_b32_e32 v2, s1
	v_add_co_u32_e32 v1, vcc, s0, v1
	v_addc_co_u32_e32 v10, vcc, v10, v2, vcc
.LBB0_71:
	s_cmp_eq_u64 s[30:31], 0
	s_cbranch_scc1 .LBB0_80
; %bb.72:
	s_load_dword s4, s[34:35], 0x0
	v_mov_b32_e32 v7, 0
	v_mov_b32_e32 v4, s30
	;; [unrolled: 1-line block ×3, first 2 shown]
	s_mul_i32 s3, s3, s22
	s_waitcnt lgkmcnt(0)
	s_cmp_lt_u32 s6, s4
	s_cselect_b32 s0, 12, 18
	s_add_u32 s0, s34, s0
	s_addc_u32 s1, s35, 0
	global_load_ushort v8, v7, s[0:1]
	s_mul_i32 s0, s2, s22
	v_mad_u64_u32 v[4:5], s[8:9], s0, v3, v[4:5]
	s_mul_i32 s1, s2, s23
	s_mul_hi_u32 s2, s2, s22
	s_add_i32 s1, s2, s1
	v_mov_b32_e32 v2, v5
	s_add_i32 s1, s1, s3
	v_mad_u64_u32 v[5:6], s[2:3], s1, v3, v[2:3]
	s_waitcnt vmcnt(0)
	v_mul_lo_u32 v9, s6, v8
	v_add_u32_e32 v6, v9, v0
	v_lshlrev_b64 v[2:3], 3, v[6:7]
	v_add_co_u32_e32 v11, vcc, 8, v2
	v_addc_co_u32_e32 v12, vcc, 0, v3, vcc
	v_cmp_ge_u64_e32 vcc, s[0:1], v[11:12]
	s_and_saveexec_b64 s[2:3], vcc
	s_cbranch_execz .LBB0_76
; %bb.73:
	v_mul_lo_u32 v6, s4, v8
	s_mov_b64 s[4:5], 0
	v_lshlrev_b64 v[6:7], 3, v[6:7]
.LBB0_74:                               ; =>This Inner Loop Header: Depth=1
	v_add_co_u32_e32 v8, vcc, v4, v2
	v_addc_co_u32_e32 v9, vcc, v5, v3, vcc
	global_load_dwordx2 v[8:9], v[8:9], off
	v_add_co_u32_e32 v11, vcc, v1, v2
	v_addc_co_u32_e32 v12, vcc, v10, v3, vcc
	v_add_co_u32_e32 v2, vcc, v2, v6
	v_addc_co_u32_e32 v3, vcc, v3, v7, vcc
	;; [unrolled: 2-line block ×3, first 2 shown]
	v_cmp_lt_u64_e32 vcc, s[0:1], v[13:14]
	s_or_b64 s[4:5], vcc, s[4:5]
	s_waitcnt vmcnt(0)
	global_store_dwordx2 v[11:12], v[8:9], off
	s_andn2_b64 exec, exec, s[4:5]
	s_cbranch_execnz .LBB0_74
; %bb.75:
	s_or_b64 exec, exec, s[4:5]
.LBB0_76:
	s_or_b64 exec, exec, s[2:3]
	v_or_b32_e32 v6, 4, v2
	v_mov_b32_e32 v7, v3
	v_cmp_ge_u64_e32 vcc, s[0:1], v[6:7]
	s_and_saveexec_b64 s[2:3], vcc
	s_cbranch_execz .LBB0_78
; %bb.77:
	v_add_co_u32_e32 v8, vcc, v4, v2
	v_addc_co_u32_e32 v9, vcc, v5, v3, vcc
	global_load_dword v0, v[8:9], off
	v_add_co_u32_e32 v2, vcc, v1, v2
	v_addc_co_u32_e32 v3, vcc, v10, v3, vcc
	s_waitcnt vmcnt(0)
	global_store_dword v[2:3], v0, off
	v_mov_b32_e32 v2, v6
	v_mov_b32_e32 v3, v7
.LBB0_78:
	s_or_b64 exec, exec, s[2:3]
	v_cmp_gt_u64_e32 vcc, s[0:1], v[2:3]
	s_and_b64 exec, exec, vcc
	s_cbranch_execz .LBB0_80
; %bb.79:
	v_add_co_u32_e32 v4, vcc, v4, v2
	v_addc_co_u32_e32 v5, vcc, v5, v3, vcc
	global_load_ushort v4, v[4:5], off
	v_add_co_u32_e32 v0, vcc, v1, v2
	v_addc_co_u32_e32 v1, vcc, v10, v3, vcc
	s_waitcnt vmcnt(0)
	global_store_short v[0:1], v4, off
.LBB0_80:
	s_endpgm
	.section	.rodata,"a",@progbits
	.p2align	6, 0x0
	.amdhsa_kernel Cat8FwdPacked
		.amdhsa_group_segment_fixed_size 0
		.amdhsa_private_segment_fixed_size 0
		.amdhsa_kernarg_size 416
		.amdhsa_user_sgpr_count 6
		.amdhsa_user_sgpr_private_segment_buffer 1
		.amdhsa_user_sgpr_dispatch_ptr 0
		.amdhsa_user_sgpr_queue_ptr 0
		.amdhsa_user_sgpr_kernarg_segment_ptr 1
		.amdhsa_user_sgpr_dispatch_id 0
		.amdhsa_user_sgpr_flat_scratch_init 0
		.amdhsa_user_sgpr_private_segment_size 0
		.amdhsa_uses_dynamic_stack 0
		.amdhsa_system_sgpr_private_segment_wavefront_offset 0
		.amdhsa_system_sgpr_workgroup_id_x 1
		.amdhsa_system_sgpr_workgroup_id_y 1
		.amdhsa_system_sgpr_workgroup_id_z 0
		.amdhsa_system_sgpr_workgroup_info 0
		.amdhsa_system_vgpr_workitem_id 1
		.amdhsa_next_free_vgpr 17
		.amdhsa_next_free_sgpr 46
		.amdhsa_reserve_vcc 1
		.amdhsa_reserve_flat_scratch 0
		.amdhsa_float_round_mode_32 0
		.amdhsa_float_round_mode_16_64 0
		.amdhsa_float_denorm_mode_32 3
		.amdhsa_float_denorm_mode_16_64 3
		.amdhsa_dx10_clamp 1
		.amdhsa_ieee_mode 1
		.amdhsa_fp16_overflow 0
		.amdhsa_exception_fp_ieee_invalid_op 0
		.amdhsa_exception_fp_denorm_src 0
		.amdhsa_exception_fp_ieee_div_zero 0
		.amdhsa_exception_fp_ieee_overflow 0
		.amdhsa_exception_fp_ieee_underflow 0
		.amdhsa_exception_fp_ieee_inexact 0
		.amdhsa_exception_int_div_zero 0
	.end_amdhsa_kernel
	.text
.Lfunc_end0:
	.size	Cat8FwdPacked, .Lfunc_end0-Cat8FwdPacked
                                        ; -- End function
	.set Cat8FwdPacked.num_vgpr, 17
	.set Cat8FwdPacked.num_agpr, 0
	.set Cat8FwdPacked.numbered_sgpr, 46
	.set Cat8FwdPacked.num_named_barrier, 0
	.set Cat8FwdPacked.private_seg_size, 0
	.set Cat8FwdPacked.uses_vcc, 1
	.set Cat8FwdPacked.uses_flat_scratch, 0
	.set Cat8FwdPacked.has_dyn_sized_stack, 0
	.set Cat8FwdPacked.has_recursion, 0
	.set Cat8FwdPacked.has_indirect_call, 0
	.section	.AMDGPU.csdata,"",@progbits
; Kernel info:
; codeLenInByte = 3092
; TotalNumSgprs: 50
; NumVgprs: 17
; ScratchSize: 0
; MemoryBound: 0
; FloatMode: 240
; IeeeMode: 1
; LDSByteSize: 0 bytes/workgroup (compile time only)
; SGPRBlocks: 6
; VGPRBlocks: 4
; NumSGPRsForWavesPerEU: 50
; NumVGPRsForWavesPerEU: 17
; Occupancy: 10
; WaveLimiterHint : 0
; COMPUTE_PGM_RSRC2:SCRATCH_EN: 0
; COMPUTE_PGM_RSRC2:USER_SGPR: 6
; COMPUTE_PGM_RSRC2:TRAP_HANDLER: 0
; COMPUTE_PGM_RSRC2:TGID_X_EN: 1
; COMPUTE_PGM_RSRC2:TGID_Y_EN: 1
; COMPUTE_PGM_RSRC2:TGID_Z_EN: 0
; COMPUTE_PGM_RSRC2:TIDIG_COMP_CNT: 1
	.text
	.protected	Cat4FwdPacked           ; -- Begin function Cat4FwdPacked
	.globl	Cat4FwdPacked
	.p2align	8
	.type	Cat4FwdPacked,@function
Cat4FwdPacked:                          ; @Cat4FwdPacked
; %bb.0:
	s_load_dword s8, s[4:5], 0x6c
	s_load_dwordx4 s[0:3], s[4:5], 0x48
	s_add_u32 s24, s4, 0x60
	s_addc_u32 s25, s5, 0
	v_mov_b32_e32 v4, 0
	s_waitcnt lgkmcnt(0)
	s_lshr_b32 s8, s8, 16
	s_mul_i32 s7, s7, s8
	v_add_u32_e32 v3, s7, v1
	v_cmp_gt_u64_e32 vcc, s[0:1], v[3:4]
	s_and_saveexec_b64 s[0:1], vcc
	s_cbranch_execz .LBB1_40
; %bb.1:
	s_load_dwordx2 s[0:1], s[4:5], 0x58
	s_load_dwordx8 s[16:23], s[4:5], 0x0
	s_load_dwordx2 s[26:27], s[4:5], 0x20
	s_load_dwordx8 s[8:15], s[4:5], 0x28
	s_waitcnt lgkmcnt(0)
	s_mul_i32 s7, s0, s3
	s_mul_hi_u32 s28, s0, s2
	v_mov_b32_e32 v1, s26
	s_mul_i32 s0, s0, s2
	v_mov_b32_e32 v2, s27
	v_mad_u64_u32 v[1:2], s[4:5], s0, v3, v[1:2]
	s_add_i32 s0, s28, s7
	s_mul_i32 s1, s1, s2
	s_add_i32 s0, s0, s1
	v_mad_u64_u32 v[4:5], s[0:1], s0, v3, v[2:3]
	s_cmp_eq_u64 s[16:17], 0
	v_mov_b32_e32 v10, v4
	s_cbranch_scc1 .LBB1_11
; %bb.2:
	s_load_dword s7, s[24:25], 0x0
	v_mov_b32_e32 v10, 0
	v_mov_b32_e32 v5, s16
	;; [unrolled: 1-line block ×3, first 2 shown]
	s_waitcnt lgkmcnt(0)
	s_cmp_lt_u32 s6, s7
	s_cselect_b32 s0, 12, 18
	s_add_u32 s0, s24, s0
	s_addc_u32 s1, s25, 0
	global_load_ushort v2, v10, s[0:1]
	s_mul_i32 s0, s2, s8
	v_mad_u64_u32 v[5:6], s[4:5], s0, v3, v[5:6]
	s_mul_i32 s1, s2, s9
	s_mul_hi_u32 s4, s2, s8
	s_mul_i32 s5, s3, s8
	s_add_i32 s1, s4, s1
	s_add_i32 s1, s1, s5
	s_waitcnt vmcnt(0)
	v_mul_lo_u32 v7, s6, v2
	v_mad_u64_u32 v[8:9], s[4:5], s1, v3, v[6:7]
	v_add_u32_e32 v9, v7, v0
	v_lshlrev_b64 v[6:7], 3, v[9:10]
	v_add_co_u32_e32 v11, vcc, 8, v6
	v_addc_co_u32_e32 v12, vcc, 0, v7, vcc
	v_cmp_ge_u64_e32 vcc, s[0:1], v[11:12]
	s_and_saveexec_b64 s[4:5], vcc
	s_cbranch_execz .LBB1_6
; %bb.3:
	v_mul_lo_u32 v9, s7, v2
	s_mov_b64 s[8:9], 0
	v_lshlrev_b64 v[9:10], 3, v[9:10]
.LBB1_4:                                ; =>This Inner Loop Header: Depth=1
	v_add_co_u32_e32 v11, vcc, v5, v6
	v_addc_co_u32_e32 v12, vcc, v8, v7, vcc
	global_load_dwordx2 v[11:12], v[11:12], off
	v_add_co_u32_e32 v13, vcc, v1, v6
	v_addc_co_u32_e32 v14, vcc, v4, v7, vcc
	v_add_co_u32_e32 v6, vcc, v6, v9
	v_addc_co_u32_e32 v7, vcc, v7, v10, vcc
	;; [unrolled: 2-line block ×3, first 2 shown]
	v_cmp_lt_u64_e32 vcc, s[0:1], v[15:16]
	s_or_b64 s[8:9], vcc, s[8:9]
	s_waitcnt vmcnt(0)
	global_store_dwordx2 v[13:14], v[11:12], off
	s_andn2_b64 exec, exec, s[8:9]
	s_cbranch_execnz .LBB1_4
; %bb.5:
	s_or_b64 exec, exec, s[8:9]
.LBB1_6:
	s_or_b64 exec, exec, s[4:5]
	v_or_b32_e32 v9, 4, v6
	v_mov_b32_e32 v10, v7
	v_cmp_ge_u64_e32 vcc, s[0:1], v[9:10]
	s_and_saveexec_b64 s[4:5], vcc
	s_cbranch_execz .LBB1_8
; %bb.7:
	v_add_co_u32_e32 v11, vcc, v5, v6
	v_addc_co_u32_e32 v12, vcc, v8, v7, vcc
	global_load_dword v2, v[11:12], off
	v_add_co_u32_e32 v6, vcc, v1, v6
	v_addc_co_u32_e32 v7, vcc, v4, v7, vcc
	s_waitcnt vmcnt(0)
	global_store_dword v[6:7], v2, off
	v_mov_b32_e32 v6, v9
	v_mov_b32_e32 v7, v10
.LBB1_8:
	s_or_b64 exec, exec, s[4:5]
	v_cmp_gt_u64_e32 vcc, s[0:1], v[6:7]
	s_and_saveexec_b64 s[4:5], vcc
	s_cbranch_execz .LBB1_10
; %bb.9:
	v_add_co_u32_e32 v9, vcc, v5, v6
	v_addc_co_u32_e32 v10, vcc, v8, v7, vcc
	global_load_ushort v2, v[9:10], off
	v_add_co_u32_e32 v5, vcc, v1, v6
	v_addc_co_u32_e32 v6, vcc, v4, v7, vcc
	s_waitcnt vmcnt(0)
	global_store_short v[5:6], v2, off
.LBB1_10:
	s_or_b64 exec, exec, s[4:5]
	v_mov_b32_e32 v2, s1
	v_add_co_u32_e32 v1, vcc, s0, v1
	v_addc_co_u32_e32 v10, vcc, v4, v2, vcc
.LBB1_11:
	s_cmp_eq_u64 s[18:19], 0
	s_cbranch_scc1 .LBB1_21
; %bb.12:
	s_load_dword s7, s[24:25], 0x0
	v_mov_b32_e32 v9, 0
	v_mov_b32_e32 v4, s18
	;; [unrolled: 1-line block ×3, first 2 shown]
	s_waitcnt lgkmcnt(0)
	s_cmp_lt_u32 s6, s7
	s_cselect_b32 s0, 12, 18
	s_add_u32 s0, s24, s0
	s_addc_u32 s1, s25, 0
	global_load_ushort v2, v9, s[0:1]
	s_mul_i32 s0, s2, s10
	v_mad_u64_u32 v[4:5], s[4:5], s0, v3, v[4:5]
	s_mul_i32 s1, s2, s11
	s_mul_hi_u32 s4, s2, s10
	s_mul_i32 s5, s3, s10
	s_add_i32 s1, s4, s1
	s_add_i32 s1, s1, s5
	s_waitcnt vmcnt(0)
	v_mul_lo_u32 v6, s6, v2
	v_mad_u64_u32 v[7:8], s[4:5], s1, v3, v[5:6]
	v_add_u32_e32 v8, v6, v0
	v_lshlrev_b64 v[5:6], 3, v[8:9]
	v_add_co_u32_e32 v11, vcc, 8, v5
	v_addc_co_u32_e32 v12, vcc, 0, v6, vcc
	v_cmp_ge_u64_e32 vcc, s[0:1], v[11:12]
	s_and_saveexec_b64 s[4:5], vcc
	s_cbranch_execz .LBB1_16
; %bb.13:
	v_mul_lo_u32 v8, s7, v2
	s_mov_b64 s[8:9], 0
	v_lshlrev_b64 v[8:9], 3, v[8:9]
.LBB1_14:                               ; =>This Inner Loop Header: Depth=1
	v_add_co_u32_e32 v11, vcc, v4, v5
	v_addc_co_u32_e32 v12, vcc, v7, v6, vcc
	global_load_dwordx2 v[11:12], v[11:12], off
	v_add_co_u32_e32 v13, vcc, v1, v5
	v_addc_co_u32_e32 v14, vcc, v10, v6, vcc
	v_add_co_u32_e32 v5, vcc, v5, v8
	v_addc_co_u32_e32 v6, vcc, v6, v9, vcc
	;; [unrolled: 2-line block ×3, first 2 shown]
	v_cmp_lt_u64_e32 vcc, s[0:1], v[15:16]
	s_or_b64 s[8:9], vcc, s[8:9]
	s_waitcnt vmcnt(0)
	global_store_dwordx2 v[13:14], v[11:12], off
	s_andn2_b64 exec, exec, s[8:9]
	s_cbranch_execnz .LBB1_14
; %bb.15:
	s_or_b64 exec, exec, s[8:9]
.LBB1_16:
	s_or_b64 exec, exec, s[4:5]
	v_or_b32_e32 v8, 4, v5
	v_mov_b32_e32 v9, v6
	v_cmp_ge_u64_e32 vcc, s[0:1], v[8:9]
	s_and_saveexec_b64 s[4:5], vcc
	s_cbranch_execz .LBB1_18
; %bb.17:
	v_add_co_u32_e32 v11, vcc, v4, v5
	v_addc_co_u32_e32 v12, vcc, v7, v6, vcc
	global_load_dword v2, v[11:12], off
	v_add_co_u32_e32 v5, vcc, v1, v5
	v_addc_co_u32_e32 v6, vcc, v10, v6, vcc
	s_waitcnt vmcnt(0)
	global_store_dword v[5:6], v2, off
	v_mov_b32_e32 v5, v8
	v_mov_b32_e32 v6, v9
.LBB1_18:
	s_or_b64 exec, exec, s[4:5]
	v_cmp_gt_u64_e32 vcc, s[0:1], v[5:6]
	s_and_saveexec_b64 s[4:5], vcc
	s_cbranch_execz .LBB1_20
; %bb.19:
	v_add_co_u32_e32 v8, vcc, v4, v5
	v_addc_co_u32_e32 v9, vcc, v7, v6, vcc
	global_load_ushort v2, v[8:9], off
	v_add_co_u32_e32 v4, vcc, v1, v5
	v_addc_co_u32_e32 v5, vcc, v10, v6, vcc
	s_waitcnt vmcnt(0)
	global_store_short v[4:5], v2, off
.LBB1_20:
	s_or_b64 exec, exec, s[4:5]
	v_mov_b32_e32 v2, s1
	v_add_co_u32_e32 v1, vcc, s0, v1
	v_addc_co_u32_e32 v10, vcc, v10, v2, vcc
.LBB1_21:
	s_cmp_eq_u64 s[20:21], 0
	s_cbranch_scc1 .LBB1_31
; %bb.22:
	s_load_dword s7, s[24:25], 0x0
	v_mov_b32_e32 v9, 0
	v_mov_b32_e32 v4, s20
	;; [unrolled: 1-line block ×3, first 2 shown]
	s_waitcnt lgkmcnt(0)
	s_cmp_lt_u32 s6, s7
	s_cselect_b32 s0, 12, 18
	s_add_u32 s0, s24, s0
	s_addc_u32 s1, s25, 0
	global_load_ushort v2, v9, s[0:1]
	s_mul_i32 s0, s2, s12
	v_mad_u64_u32 v[4:5], s[4:5], s0, v3, v[4:5]
	s_mul_i32 s1, s2, s13
	s_mul_hi_u32 s4, s2, s12
	s_mul_i32 s5, s3, s12
	s_add_i32 s1, s4, s1
	s_add_i32 s1, s1, s5
	s_waitcnt vmcnt(0)
	v_mul_lo_u32 v6, s6, v2
	v_mad_u64_u32 v[7:8], s[4:5], s1, v3, v[5:6]
	v_add_u32_e32 v8, v6, v0
	v_lshlrev_b64 v[5:6], 3, v[8:9]
	v_add_co_u32_e32 v11, vcc, 8, v5
	v_addc_co_u32_e32 v12, vcc, 0, v6, vcc
	v_cmp_ge_u64_e32 vcc, s[0:1], v[11:12]
	s_and_saveexec_b64 s[4:5], vcc
	s_cbranch_execz .LBB1_26
; %bb.23:
	v_mul_lo_u32 v8, s7, v2
	s_mov_b64 s[8:9], 0
	v_lshlrev_b64 v[8:9], 3, v[8:9]
.LBB1_24:                               ; =>This Inner Loop Header: Depth=1
	v_add_co_u32_e32 v11, vcc, v4, v5
	v_addc_co_u32_e32 v12, vcc, v7, v6, vcc
	global_load_dwordx2 v[11:12], v[11:12], off
	v_add_co_u32_e32 v13, vcc, v1, v5
	v_addc_co_u32_e32 v14, vcc, v10, v6, vcc
	v_add_co_u32_e32 v5, vcc, v5, v8
	v_addc_co_u32_e32 v6, vcc, v6, v9, vcc
	;; [unrolled: 2-line block ×3, first 2 shown]
	v_cmp_lt_u64_e32 vcc, s[0:1], v[15:16]
	s_or_b64 s[8:9], vcc, s[8:9]
	s_waitcnt vmcnt(0)
	global_store_dwordx2 v[13:14], v[11:12], off
	s_andn2_b64 exec, exec, s[8:9]
	s_cbranch_execnz .LBB1_24
; %bb.25:
	s_or_b64 exec, exec, s[8:9]
.LBB1_26:
	s_or_b64 exec, exec, s[4:5]
	v_or_b32_e32 v8, 4, v5
	v_mov_b32_e32 v9, v6
	v_cmp_ge_u64_e32 vcc, s[0:1], v[8:9]
	s_and_saveexec_b64 s[4:5], vcc
	s_cbranch_execz .LBB1_28
; %bb.27:
	v_add_co_u32_e32 v11, vcc, v4, v5
	v_addc_co_u32_e32 v12, vcc, v7, v6, vcc
	global_load_dword v2, v[11:12], off
	v_add_co_u32_e32 v5, vcc, v1, v5
	v_addc_co_u32_e32 v6, vcc, v10, v6, vcc
	s_waitcnt vmcnt(0)
	global_store_dword v[5:6], v2, off
	v_mov_b32_e32 v5, v8
	v_mov_b32_e32 v6, v9
.LBB1_28:
	s_or_b64 exec, exec, s[4:5]
	v_cmp_gt_u64_e32 vcc, s[0:1], v[5:6]
	s_and_saveexec_b64 s[4:5], vcc
	s_cbranch_execz .LBB1_30
; %bb.29:
	v_add_co_u32_e32 v8, vcc, v4, v5
	v_addc_co_u32_e32 v9, vcc, v7, v6, vcc
	global_load_ushort v2, v[8:9], off
	v_add_co_u32_e32 v4, vcc, v1, v5
	v_addc_co_u32_e32 v5, vcc, v10, v6, vcc
	s_waitcnt vmcnt(0)
	global_store_short v[4:5], v2, off
.LBB1_30:
	s_or_b64 exec, exec, s[4:5]
	v_mov_b32_e32 v2, s1
	v_add_co_u32_e32 v1, vcc, s0, v1
	v_addc_co_u32_e32 v10, vcc, v10, v2, vcc
.LBB1_31:
	s_cmp_eq_u64 s[22:23], 0
	s_cbranch_scc1 .LBB1_40
; %bb.32:
	s_load_dword s4, s[24:25], 0x0
	v_mov_b32_e32 v7, 0
	v_mov_b32_e32 v4, s22
	;; [unrolled: 1-line block ×3, first 2 shown]
	s_mul_i32 s3, s3, s14
	s_waitcnt lgkmcnt(0)
	s_cmp_lt_u32 s6, s4
	s_cselect_b32 s0, 12, 18
	s_add_u32 s0, s24, s0
	s_addc_u32 s1, s25, 0
	global_load_ushort v8, v7, s[0:1]
	s_mul_i32 s0, s2, s14
	v_mad_u64_u32 v[4:5], s[8:9], s0, v3, v[4:5]
	s_mul_i32 s1, s2, s15
	s_mul_hi_u32 s2, s2, s14
	s_add_i32 s1, s2, s1
	v_mov_b32_e32 v2, v5
	s_add_i32 s1, s1, s3
	v_mad_u64_u32 v[5:6], s[2:3], s1, v3, v[2:3]
	s_waitcnt vmcnt(0)
	v_mul_lo_u32 v9, s6, v8
	v_add_u32_e32 v6, v9, v0
	v_lshlrev_b64 v[2:3], 3, v[6:7]
	v_add_co_u32_e32 v11, vcc, 8, v2
	v_addc_co_u32_e32 v12, vcc, 0, v3, vcc
	v_cmp_ge_u64_e32 vcc, s[0:1], v[11:12]
	s_and_saveexec_b64 s[2:3], vcc
	s_cbranch_execz .LBB1_36
; %bb.33:
	v_mul_lo_u32 v6, s4, v8
	s_mov_b64 s[4:5], 0
	v_lshlrev_b64 v[6:7], 3, v[6:7]
.LBB1_34:                               ; =>This Inner Loop Header: Depth=1
	v_add_co_u32_e32 v8, vcc, v4, v2
	v_addc_co_u32_e32 v9, vcc, v5, v3, vcc
	global_load_dwordx2 v[8:9], v[8:9], off
	v_add_co_u32_e32 v11, vcc, v1, v2
	v_addc_co_u32_e32 v12, vcc, v10, v3, vcc
	v_add_co_u32_e32 v2, vcc, v2, v6
	v_addc_co_u32_e32 v3, vcc, v3, v7, vcc
	;; [unrolled: 2-line block ×3, first 2 shown]
	v_cmp_lt_u64_e32 vcc, s[0:1], v[13:14]
	s_or_b64 s[4:5], vcc, s[4:5]
	s_waitcnt vmcnt(0)
	global_store_dwordx2 v[11:12], v[8:9], off
	s_andn2_b64 exec, exec, s[4:5]
	s_cbranch_execnz .LBB1_34
; %bb.35:
	s_or_b64 exec, exec, s[4:5]
.LBB1_36:
	s_or_b64 exec, exec, s[2:3]
	v_or_b32_e32 v6, 4, v2
	v_mov_b32_e32 v7, v3
	v_cmp_ge_u64_e32 vcc, s[0:1], v[6:7]
	s_and_saveexec_b64 s[2:3], vcc
	s_cbranch_execz .LBB1_38
; %bb.37:
	v_add_co_u32_e32 v8, vcc, v4, v2
	v_addc_co_u32_e32 v9, vcc, v5, v3, vcc
	global_load_dword v0, v[8:9], off
	v_add_co_u32_e32 v2, vcc, v1, v2
	v_addc_co_u32_e32 v3, vcc, v10, v3, vcc
	s_waitcnt vmcnt(0)
	global_store_dword v[2:3], v0, off
	v_mov_b32_e32 v2, v6
	v_mov_b32_e32 v3, v7
.LBB1_38:
	s_or_b64 exec, exec, s[2:3]
	v_cmp_gt_u64_e32 vcc, s[0:1], v[2:3]
	s_and_b64 exec, exec, vcc
	s_cbranch_execz .LBB1_40
; %bb.39:
	v_add_co_u32_e32 v4, vcc, v4, v2
	v_addc_co_u32_e32 v5, vcc, v5, v3, vcc
	global_load_ushort v4, v[4:5], off
	v_add_co_u32_e32 v0, vcc, v1, v2
	v_addc_co_u32_e32 v1, vcc, v10, v3, vcc
	s_waitcnt vmcnt(0)
	global_store_short v[0:1], v4, off
.LBB1_40:
	s_endpgm
	.section	.rodata,"a",@progbits
	.p2align	6, 0x0
	.amdhsa_kernel Cat4FwdPacked
		.amdhsa_group_segment_fixed_size 0
		.amdhsa_private_segment_fixed_size 0
		.amdhsa_kernarg_size 352
		.amdhsa_user_sgpr_count 6
		.amdhsa_user_sgpr_private_segment_buffer 1
		.amdhsa_user_sgpr_dispatch_ptr 0
		.amdhsa_user_sgpr_queue_ptr 0
		.amdhsa_user_sgpr_kernarg_segment_ptr 1
		.amdhsa_user_sgpr_dispatch_id 0
		.amdhsa_user_sgpr_flat_scratch_init 0
		.amdhsa_user_sgpr_private_segment_size 0
		.amdhsa_uses_dynamic_stack 0
		.amdhsa_system_sgpr_private_segment_wavefront_offset 0
		.amdhsa_system_sgpr_workgroup_id_x 1
		.amdhsa_system_sgpr_workgroup_id_y 1
		.amdhsa_system_sgpr_workgroup_id_z 0
		.amdhsa_system_sgpr_workgroup_info 0
		.amdhsa_system_vgpr_workitem_id 1
		.amdhsa_next_free_vgpr 17
		.amdhsa_next_free_sgpr 29
		.amdhsa_reserve_vcc 1
		.amdhsa_reserve_flat_scratch 0
		.amdhsa_float_round_mode_32 0
		.amdhsa_float_round_mode_16_64 0
		.amdhsa_float_denorm_mode_32 3
		.amdhsa_float_denorm_mode_16_64 3
		.amdhsa_dx10_clamp 1
		.amdhsa_ieee_mode 1
		.amdhsa_fp16_overflow 0
		.amdhsa_exception_fp_ieee_invalid_op 0
		.amdhsa_exception_fp_denorm_src 0
		.amdhsa_exception_fp_ieee_div_zero 0
		.amdhsa_exception_fp_ieee_overflow 0
		.amdhsa_exception_fp_ieee_underflow 0
		.amdhsa_exception_fp_ieee_inexact 0
		.amdhsa_exception_int_div_zero 0
	.end_amdhsa_kernel
	.text
.Lfunc_end1:
	.size	Cat4FwdPacked, .Lfunc_end1-Cat4FwdPacked
                                        ; -- End function
	.set Cat4FwdPacked.num_vgpr, 17
	.set Cat4FwdPacked.num_agpr, 0
	.set Cat4FwdPacked.numbered_sgpr, 29
	.set Cat4FwdPacked.num_named_barrier, 0
	.set Cat4FwdPacked.private_seg_size, 0
	.set Cat4FwdPacked.uses_vcc, 1
	.set Cat4FwdPacked.uses_flat_scratch, 0
	.set Cat4FwdPacked.has_dyn_sized_stack, 0
	.set Cat4FwdPacked.has_recursion, 0
	.set Cat4FwdPacked.has_indirect_call, 0
	.section	.AMDGPU.csdata,"",@progbits
; Kernel info:
; codeLenInByte = 1612
; TotalNumSgprs: 33
; NumVgprs: 17
; ScratchSize: 0
; MemoryBound: 0
; FloatMode: 240
; IeeeMode: 1
; LDSByteSize: 0 bytes/workgroup (compile time only)
; SGPRBlocks: 4
; VGPRBlocks: 4
; NumSGPRsForWavesPerEU: 33
; NumVGPRsForWavesPerEU: 17
; Occupancy: 10
; WaveLimiterHint : 0
; COMPUTE_PGM_RSRC2:SCRATCH_EN: 0
; COMPUTE_PGM_RSRC2:USER_SGPR: 6
; COMPUTE_PGM_RSRC2:TRAP_HANDLER: 0
; COMPUTE_PGM_RSRC2:TGID_X_EN: 1
; COMPUTE_PGM_RSRC2:TGID_Y_EN: 1
; COMPUTE_PGM_RSRC2:TGID_Z_EN: 0
; COMPUTE_PGM_RSRC2:TIDIG_COMP_CNT: 1
	.text
	.protected	Cat2FwdPacked           ; -- Begin function Cat2FwdPacked
	.globl	Cat2FwdPacked
	.p2align	8
	.type	Cat2FwdPacked,@function
Cat2FwdPacked:                          ; @Cat2FwdPacked
; %bb.0:
	s_load_dword s0, s[4:5], 0x4c
	s_load_dwordx8 s[8:15], s[4:5], 0x18
	s_add_u32 s16, s4, 64
	s_addc_u32 s17, s5, 0
	v_mov_b32_e32 v4, 0
	s_waitcnt lgkmcnt(0)
	s_lshr_b32 s0, s0, 16
	s_mul_i32 s7, s7, s0
	v_add_u32_e32 v3, s7, v1
	v_cmp_gt_u64_e32 vcc, s[12:13], v[3:4]
	s_and_saveexec_b64 s[0:1], vcc
	s_cbranch_execz .LBB2_20
; %bb.1:
	s_load_dwordx2 s[12:13], s[4:5], 0x38
	s_load_dwordx2 s[18:19], s[4:5], 0x10
	s_load_dwordx4 s[0:3], s[4:5], 0x0
	s_waitcnt lgkmcnt(0)
	s_mul_i32 s4, s12, s14
	v_mov_b32_e32 v1, s18
	v_mov_b32_e32 v2, s19
	v_mad_u64_u32 v[1:2], s[4:5], s4, v3, v[1:2]
	s_mul_i32 s7, s12, s15
	s_mul_hi_u32 s20, s12, s14
	s_add_i32 s4, s20, s7
	s_mul_i32 s5, s13, s14
	s_add_i32 s4, s4, s5
	v_mad_u64_u32 v[4:5], s[4:5], s4, v3, v[2:3]
	s_cmp_eq_u64 s[0:1], 0
	v_mov_b32_e32 v8, v4
	s_cbranch_scc1 .LBB2_11
; %bb.2:
	s_load_dword s7, s[16:17], 0x0
	v_mov_b32_e32 v10, 0
	v_mov_b32_e32 v6, s1
	;; [unrolled: 1-line block ×3, first 2 shown]
	s_waitcnt lgkmcnt(0)
	s_cmp_lt_u32 s6, s7
	s_cselect_b32 s4, 12, 18
	s_add_u32 s4, s16, s4
	s_addc_u32 s5, s17, 0
	global_load_ushort v2, v10, s[4:5]
	s_mul_i32 s4, s14, s8
	v_mad_u64_u32 v[5:6], s[0:1], s4, v3, v[5:6]
	s_mul_i32 s0, s14, s9
	s_mul_hi_u32 s1, s14, s8
	s_mul_i32 s5, s15, s8
	s_add_i32 s0, s1, s0
	s_add_i32 s5, s0, s5
	s_waitcnt vmcnt(0)
	v_mul_lo_u32 v7, s6, v2
	v_mad_u64_u32 v[8:9], s[0:1], s5, v3, v[6:7]
	v_add_u32_e32 v9, v7, v0
	v_lshlrev_b64 v[6:7], 3, v[9:10]
	v_add_co_u32_e32 v11, vcc, 8, v6
	v_addc_co_u32_e32 v12, vcc, 0, v7, vcc
	v_cmp_ge_u64_e32 vcc, s[4:5], v[11:12]
	s_and_saveexec_b64 s[0:1], vcc
	s_cbranch_execz .LBB2_6
; %bb.3:
	v_mul_lo_u32 v9, s7, v2
	s_mov_b64 s[8:9], 0
	v_lshlrev_b64 v[9:10], 3, v[9:10]
.LBB2_4:                                ; =>This Inner Loop Header: Depth=1
	v_add_co_u32_e32 v11, vcc, v5, v6
	v_addc_co_u32_e32 v12, vcc, v8, v7, vcc
	global_load_dwordx2 v[11:12], v[11:12], off
	v_add_co_u32_e32 v13, vcc, v1, v6
	v_addc_co_u32_e32 v14, vcc, v4, v7, vcc
	v_add_co_u32_e32 v6, vcc, v6, v9
	v_addc_co_u32_e32 v7, vcc, v7, v10, vcc
	;; [unrolled: 2-line block ×3, first 2 shown]
	v_cmp_lt_u64_e32 vcc, s[4:5], v[15:16]
	s_or_b64 s[8:9], vcc, s[8:9]
	s_waitcnt vmcnt(0)
	global_store_dwordx2 v[13:14], v[11:12], off
	s_andn2_b64 exec, exec, s[8:9]
	s_cbranch_execnz .LBB2_4
; %bb.5:
	s_or_b64 exec, exec, s[8:9]
.LBB2_6:
	s_or_b64 exec, exec, s[0:1]
	v_or_b32_e32 v9, 4, v6
	v_mov_b32_e32 v10, v7
	v_cmp_ge_u64_e32 vcc, s[4:5], v[9:10]
	s_and_saveexec_b64 s[0:1], vcc
	s_cbranch_execz .LBB2_8
; %bb.7:
	v_add_co_u32_e32 v11, vcc, v5, v6
	v_addc_co_u32_e32 v12, vcc, v8, v7, vcc
	global_load_dword v2, v[11:12], off
	v_add_co_u32_e32 v6, vcc, v1, v6
	v_addc_co_u32_e32 v7, vcc, v4, v7, vcc
	s_waitcnt vmcnt(0)
	global_store_dword v[6:7], v2, off
	v_mov_b32_e32 v6, v9
	v_mov_b32_e32 v7, v10
.LBB2_8:
	s_or_b64 exec, exec, s[0:1]
	v_cmp_gt_u64_e32 vcc, s[4:5], v[6:7]
	s_and_saveexec_b64 s[0:1], vcc
	s_cbranch_execz .LBB2_10
; %bb.9:
	v_add_co_u32_e32 v9, vcc, v5, v6
	v_addc_co_u32_e32 v10, vcc, v8, v7, vcc
	global_load_ushort v2, v[9:10], off
	v_add_co_u32_e32 v5, vcc, v1, v6
	v_addc_co_u32_e32 v6, vcc, v4, v7, vcc
	s_waitcnt vmcnt(0)
	global_store_short v[5:6], v2, off
.LBB2_10:
	s_or_b64 exec, exec, s[0:1]
	v_mov_b32_e32 v2, s5
	v_add_co_u32_e32 v1, vcc, s4, v1
	v_addc_co_u32_e32 v8, vcc, v4, v2, vcc
.LBB2_11:
	s_cmp_eq_u64 s[2:3], 0
	s_cbranch_scc1 .LBB2_20
; %bb.12:
	s_load_dword s4, s[16:17], 0x0
	v_mov_b32_e32 v7, 0
	v_mov_b32_e32 v5, s3
	;; [unrolled: 1-line block ×3, first 2 shown]
	s_waitcnt lgkmcnt(0)
	s_cmp_lt_u32 s6, s4
	s_cselect_b32 s0, 12, 18
	s_add_u32 s0, s16, s0
	s_addc_u32 s1, s17, 0
	global_load_ushort v9, v7, s[0:1]
	s_mul_i32 s0, s14, s10
	v_mad_u64_u32 v[4:5], s[2:3], s0, v3, v[4:5]
	s_mul_i32 s1, s14, s11
	s_mul_hi_u32 s2, s14, s10
	s_mul_i32 s3, s15, s10
	s_add_i32 s1, s2, s1
	v_mov_b32_e32 v2, v5
	s_add_i32 s1, s1, s3
	v_mad_u64_u32 v[5:6], s[2:3], s1, v3, v[2:3]
	s_waitcnt vmcnt(0)
	v_mul_lo_u32 v10, s6, v9
	v_add_u32_e32 v6, v10, v0
	v_lshlrev_b64 v[2:3], 3, v[6:7]
	v_add_co_u32_e32 v10, vcc, 8, v2
	v_addc_co_u32_e32 v11, vcc, 0, v3, vcc
	v_cmp_ge_u64_e32 vcc, s[0:1], v[10:11]
	s_and_saveexec_b64 s[2:3], vcc
	s_cbranch_execz .LBB2_16
; %bb.13:
	v_mul_lo_u32 v6, s4, v9
	s_mov_b64 s[4:5], 0
	v_lshlrev_b64 v[6:7], 3, v[6:7]
.LBB2_14:                               ; =>This Inner Loop Header: Depth=1
	v_add_co_u32_e32 v9, vcc, v4, v2
	v_addc_co_u32_e32 v10, vcc, v5, v3, vcc
	global_load_dwordx2 v[9:10], v[9:10], off
	v_add_co_u32_e32 v11, vcc, v1, v2
	v_addc_co_u32_e32 v12, vcc, v8, v3, vcc
	v_add_co_u32_e32 v2, vcc, v2, v6
	v_addc_co_u32_e32 v3, vcc, v3, v7, vcc
	;; [unrolled: 2-line block ×3, first 2 shown]
	v_cmp_lt_u64_e32 vcc, s[0:1], v[13:14]
	s_or_b64 s[4:5], vcc, s[4:5]
	s_waitcnt vmcnt(0)
	global_store_dwordx2 v[11:12], v[9:10], off
	s_andn2_b64 exec, exec, s[4:5]
	s_cbranch_execnz .LBB2_14
; %bb.15:
	s_or_b64 exec, exec, s[4:5]
.LBB2_16:
	s_or_b64 exec, exec, s[2:3]
	v_or_b32_e32 v6, 4, v2
	v_mov_b32_e32 v7, v3
	v_cmp_ge_u64_e32 vcc, s[0:1], v[6:7]
	s_and_saveexec_b64 s[2:3], vcc
	s_cbranch_execz .LBB2_18
; %bb.17:
	v_add_co_u32_e32 v9, vcc, v4, v2
	v_addc_co_u32_e32 v10, vcc, v5, v3, vcc
	global_load_dword v0, v[9:10], off
	v_add_co_u32_e32 v2, vcc, v1, v2
	v_addc_co_u32_e32 v3, vcc, v8, v3, vcc
	s_waitcnt vmcnt(0)
	global_store_dword v[2:3], v0, off
	v_mov_b32_e32 v2, v6
	v_mov_b32_e32 v3, v7
.LBB2_18:
	s_or_b64 exec, exec, s[2:3]
	v_cmp_gt_u64_e32 vcc, s[0:1], v[2:3]
	s_and_b64 exec, exec, vcc
	s_cbranch_execz .LBB2_20
; %bb.19:
	v_add_co_u32_e32 v4, vcc, v4, v2
	v_addc_co_u32_e32 v5, vcc, v5, v3, vcc
	global_load_ushort v4, v[4:5], off
	v_add_co_u32_e32 v0, vcc, v1, v2
	v_addc_co_u32_e32 v1, vcc, v8, v3, vcc
	s_waitcnt vmcnt(0)
	global_store_short v[0:1], v4, off
.LBB2_20:
	s_endpgm
	.section	.rodata,"a",@progbits
	.p2align	6, 0x0
	.amdhsa_kernel Cat2FwdPacked
		.amdhsa_group_segment_fixed_size 0
		.amdhsa_private_segment_fixed_size 0
		.amdhsa_kernarg_size 320
		.amdhsa_user_sgpr_count 6
		.amdhsa_user_sgpr_private_segment_buffer 1
		.amdhsa_user_sgpr_dispatch_ptr 0
		.amdhsa_user_sgpr_queue_ptr 0
		.amdhsa_user_sgpr_kernarg_segment_ptr 1
		.amdhsa_user_sgpr_dispatch_id 0
		.amdhsa_user_sgpr_flat_scratch_init 0
		.amdhsa_user_sgpr_private_segment_size 0
		.amdhsa_uses_dynamic_stack 0
		.amdhsa_system_sgpr_private_segment_wavefront_offset 0
		.amdhsa_system_sgpr_workgroup_id_x 1
		.amdhsa_system_sgpr_workgroup_id_y 1
		.amdhsa_system_sgpr_workgroup_id_z 0
		.amdhsa_system_sgpr_workgroup_info 0
		.amdhsa_system_vgpr_workitem_id 1
		.amdhsa_next_free_vgpr 17
		.amdhsa_next_free_sgpr 21
		.amdhsa_reserve_vcc 1
		.amdhsa_reserve_flat_scratch 0
		.amdhsa_float_round_mode_32 0
		.amdhsa_float_round_mode_16_64 0
		.amdhsa_float_denorm_mode_32 3
		.amdhsa_float_denorm_mode_16_64 3
		.amdhsa_dx10_clamp 1
		.amdhsa_ieee_mode 1
		.amdhsa_fp16_overflow 0
		.amdhsa_exception_fp_ieee_invalid_op 0
		.amdhsa_exception_fp_denorm_src 0
		.amdhsa_exception_fp_ieee_div_zero 0
		.amdhsa_exception_fp_ieee_overflow 0
		.amdhsa_exception_fp_ieee_underflow 0
		.amdhsa_exception_fp_ieee_inexact 0
		.amdhsa_exception_int_div_zero 0
	.end_amdhsa_kernel
	.text
.Lfunc_end2:
	.size	Cat2FwdPacked, .Lfunc_end2-Cat2FwdPacked
                                        ; -- End function
	.set Cat2FwdPacked.num_vgpr, 17
	.set Cat2FwdPacked.num_agpr, 0
	.set Cat2FwdPacked.numbered_sgpr, 21
	.set Cat2FwdPacked.num_named_barrier, 0
	.set Cat2FwdPacked.private_seg_size, 0
	.set Cat2FwdPacked.uses_vcc, 1
	.set Cat2FwdPacked.uses_flat_scratch, 0
	.set Cat2FwdPacked.has_dyn_sized_stack, 0
	.set Cat2FwdPacked.has_recursion, 0
	.set Cat2FwdPacked.has_indirect_call, 0
	.section	.AMDGPU.csdata,"",@progbits
; Kernel info:
; codeLenInByte = 864
; TotalNumSgprs: 25
; NumVgprs: 17
; ScratchSize: 0
; MemoryBound: 0
; FloatMode: 240
; IeeeMode: 1
; LDSByteSize: 0 bytes/workgroup (compile time only)
; SGPRBlocks: 3
; VGPRBlocks: 4
; NumSGPRsForWavesPerEU: 25
; NumVGPRsForWavesPerEU: 17
; Occupancy: 10
; WaveLimiterHint : 0
; COMPUTE_PGM_RSRC2:SCRATCH_EN: 0
; COMPUTE_PGM_RSRC2:USER_SGPR: 6
; COMPUTE_PGM_RSRC2:TRAP_HANDLER: 0
; COMPUTE_PGM_RSRC2:TGID_X_EN: 1
; COMPUTE_PGM_RSRC2:TGID_Y_EN: 1
; COMPUTE_PGM_RSRC2:TGID_Z_EN: 0
; COMPUTE_PGM_RSRC2:TIDIG_COMP_CNT: 1
	.section	.AMDGPU.gpr_maximums,"",@progbits
	.set amdgpu.max_num_vgpr, 0
	.set amdgpu.max_num_agpr, 0
	.set amdgpu.max_num_sgpr, 0
	.section	.AMDGPU.csdata,"",@progbits
	.type	__hip_cuid_fe63b5ab58d266c8,@object ; @__hip_cuid_fe63b5ab58d266c8
	.section	.bss,"aw",@nobits
	.globl	__hip_cuid_fe63b5ab58d266c8
__hip_cuid_fe63b5ab58d266c8:
	.byte	0                               ; 0x0
	.size	__hip_cuid_fe63b5ab58d266c8, 1

	.ident	"AMD clang version 22.0.0git (https://github.com/RadeonOpenCompute/llvm-project roc-7.2.4 26084 f58b06dce1f9c15707c5f808fd002e18c2accf7e)"
	.section	".note.GNU-stack","",@progbits
	.addrsig
	.addrsig_sym __hip_cuid_fe63b5ab58d266c8
	.amdgpu_metadata
---
amdhsa.kernels:
  - .args:
      - .actual_access:  read_only
        .address_space:  global
        .offset:         0
        .size:           8
        .value_kind:     global_buffer
      - .actual_access:  read_only
        .address_space:  global
        .offset:         8
        .size:           8
        .value_kind:     global_buffer
      - .actual_access:  read_only
        .address_space:  global
        .offset:         16
        .size:           8
        .value_kind:     global_buffer
      - .actual_access:  read_only
        .address_space:  global
        .offset:         24
        .size:           8
        .value_kind:     global_buffer
      - .actual_access:  read_only
        .address_space:  global
        .offset:         32
        .size:           8
        .value_kind:     global_buffer
      - .actual_access:  read_only
        .address_space:  global
        .offset:         40
        .size:           8
        .value_kind:     global_buffer
      - .actual_access:  read_only
        .address_space:  global
        .offset:         48
        .size:           8
        .value_kind:     global_buffer
      - .actual_access:  read_only
        .address_space:  global
        .offset:         56
        .size:           8
        .value_kind:     global_buffer
      - .actual_access:  write_only
        .address_space:  global
        .offset:         64
        .size:           8
        .value_kind:     global_buffer
      - .offset:         72
        .size:           8
        .value_kind:     by_value
      - .offset:         80
        .size:           8
        .value_kind:     by_value
      - .offset:         88
        .size:           8
        .value_kind:     by_value
      - .offset:         96
        .size:           8
        .value_kind:     by_value
      - .offset:         104
        .size:           8
        .value_kind:     by_value
      - .offset:         112
        .size:           8
        .value_kind:     by_value
      - .offset:         120
        .size:           8
        .value_kind:     by_value
      - .offset:         128
        .size:           8
        .value_kind:     by_value
      - .offset:         136
        .size:           8
        .value_kind:     by_value
      - .offset:         144
        .size:           8
        .value_kind:     by_value
      - .offset:         152
        .size:           8
        .value_kind:     by_value
      - .offset:         160
        .size:           4
        .value_kind:     hidden_block_count_x
      - .offset:         164
        .size:           4
        .value_kind:     hidden_block_count_y
      - .offset:         168
        .size:           4
        .value_kind:     hidden_block_count_z
      - .offset:         172
        .size:           2
        .value_kind:     hidden_group_size_x
      - .offset:         174
        .size:           2
        .value_kind:     hidden_group_size_y
      - .offset:         176
        .size:           2
        .value_kind:     hidden_group_size_z
      - .offset:         178
        .size:           2
        .value_kind:     hidden_remainder_x
      - .offset:         180
        .size:           2
        .value_kind:     hidden_remainder_y
      - .offset:         182
        .size:           2
        .value_kind:     hidden_remainder_z
      - .offset:         200
        .size:           8
        .value_kind:     hidden_global_offset_x
      - .offset:         208
        .size:           8
        .value_kind:     hidden_global_offset_y
      - .offset:         216
        .size:           8
        .value_kind:     hidden_global_offset_z
      - .offset:         224
        .size:           2
        .value_kind:     hidden_grid_dims
    .group_segment_fixed_size: 0
    .kernarg_segment_align: 8
    .kernarg_segment_size: 416
    .language:       OpenCL C
    .language_version:
      - 2
      - 0
    .max_flat_workgroup_size: 1024
    .name:           Cat8FwdPacked
    .private_segment_fixed_size: 0
    .sgpr_count:     50
    .sgpr_spill_count: 0
    .symbol:         Cat8FwdPacked.kd
    .uniform_work_group_size: 1
    .uses_dynamic_stack: false
    .vgpr_count:     17
    .vgpr_spill_count: 0
    .wavefront_size: 64
  - .args:
      - .actual_access:  read_only
        .address_space:  global
        .offset:         0
        .size:           8
        .value_kind:     global_buffer
      - .actual_access:  read_only
        .address_space:  global
        .offset:         8
        .size:           8
        .value_kind:     global_buffer
      - .actual_access:  read_only
        .address_space:  global
        .offset:         16
        .size:           8
        .value_kind:     global_buffer
      - .actual_access:  read_only
        .address_space:  global
        .offset:         24
        .size:           8
        .value_kind:     global_buffer
      - .actual_access:  write_only
        .address_space:  global
        .offset:         32
        .size:           8
        .value_kind:     global_buffer
      - .offset:         40
        .size:           8
        .value_kind:     by_value
      - .offset:         48
        .size:           8
        .value_kind:     by_value
      - .offset:         56
        .size:           8
        .value_kind:     by_value
      - .offset:         64
        .size:           8
        .value_kind:     by_value
      - .offset:         72
        .size:           8
        .value_kind:     by_value
      - .offset:         80
        .size:           8
        .value_kind:     by_value
      - .offset:         88
        .size:           8
        .value_kind:     by_value
      - .offset:         96
        .size:           4
        .value_kind:     hidden_block_count_x
      - .offset:         100
        .size:           4
        .value_kind:     hidden_block_count_y
      - .offset:         104
        .size:           4
        .value_kind:     hidden_block_count_z
      - .offset:         108
        .size:           2
        .value_kind:     hidden_group_size_x
      - .offset:         110
        .size:           2
        .value_kind:     hidden_group_size_y
      - .offset:         112
        .size:           2
        .value_kind:     hidden_group_size_z
      - .offset:         114
        .size:           2
        .value_kind:     hidden_remainder_x
      - .offset:         116
        .size:           2
        .value_kind:     hidden_remainder_y
      - .offset:         118
        .size:           2
        .value_kind:     hidden_remainder_z
      - .offset:         136
        .size:           8
        .value_kind:     hidden_global_offset_x
      - .offset:         144
        .size:           8
        .value_kind:     hidden_global_offset_y
      - .offset:         152
        .size:           8
        .value_kind:     hidden_global_offset_z
      - .offset:         160
        .size:           2
        .value_kind:     hidden_grid_dims
    .group_segment_fixed_size: 0
    .kernarg_segment_align: 8
    .kernarg_segment_size: 352
    .language:       OpenCL C
    .language_version:
      - 2
      - 0
    .max_flat_workgroup_size: 1024
    .name:           Cat4FwdPacked
    .private_segment_fixed_size: 0
    .sgpr_count:     33
    .sgpr_spill_count: 0
    .symbol:         Cat4FwdPacked.kd
    .uniform_work_group_size: 1
    .uses_dynamic_stack: false
    .vgpr_count:     17
    .vgpr_spill_count: 0
    .wavefront_size: 64
  - .args:
      - .actual_access:  read_only
        .address_space:  global
        .offset:         0
        .size:           8
        .value_kind:     global_buffer
      - .actual_access:  read_only
        .address_space:  global
        .offset:         8
        .size:           8
        .value_kind:     global_buffer
      - .actual_access:  write_only
        .address_space:  global
        .offset:         16
        .size:           8
        .value_kind:     global_buffer
      - .offset:         24
        .size:           8
        .value_kind:     by_value
      - .offset:         32
        .size:           8
        .value_kind:     by_value
      - .offset:         40
        .size:           8
        .value_kind:     by_value
      - .offset:         48
        .size:           8
        .value_kind:     by_value
      - .offset:         56
        .size:           8
        .value_kind:     by_value
      - .offset:         64
        .size:           4
        .value_kind:     hidden_block_count_x
      - .offset:         68
        .size:           4
        .value_kind:     hidden_block_count_y
      - .offset:         72
        .size:           4
        .value_kind:     hidden_block_count_z
      - .offset:         76
        .size:           2
        .value_kind:     hidden_group_size_x
      - .offset:         78
        .size:           2
        .value_kind:     hidden_group_size_y
      - .offset:         80
        .size:           2
        .value_kind:     hidden_group_size_z
      - .offset:         82
        .size:           2
        .value_kind:     hidden_remainder_x
      - .offset:         84
        .size:           2
        .value_kind:     hidden_remainder_y
      - .offset:         86
        .size:           2
        .value_kind:     hidden_remainder_z
      - .offset:         104
        .size:           8
        .value_kind:     hidden_global_offset_x
      - .offset:         112
        .size:           8
        .value_kind:     hidden_global_offset_y
      - .offset:         120
        .size:           8
        .value_kind:     hidden_global_offset_z
      - .offset:         128
        .size:           2
        .value_kind:     hidden_grid_dims
    .group_segment_fixed_size: 0
    .kernarg_segment_align: 8
    .kernarg_segment_size: 320
    .language:       OpenCL C
    .language_version:
      - 2
      - 0
    .max_flat_workgroup_size: 1024
    .name:           Cat2FwdPacked
    .private_segment_fixed_size: 0
    .sgpr_count:     25
    .sgpr_spill_count: 0
    .symbol:         Cat2FwdPacked.kd
    .uniform_work_group_size: 1
    .uses_dynamic_stack: false
    .vgpr_count:     17
    .vgpr_spill_count: 0
    .wavefront_size: 64
amdhsa.target:   amdgcn-amd-amdhsa--gfx906
amdhsa.version:
  - 1
  - 2
...

	.end_amdgpu_metadata
